;; amdgpu-corpus repo=ROCm/rocFFT kind=compiled arch=gfx906 opt=O3
	.text
	.amdgcn_target "amdgcn-amd-amdhsa--gfx906"
	.amdhsa_code_object_version 6
	.protected	bluestein_single_back_len1056_dim1_sp_op_CI_CI ; -- Begin function bluestein_single_back_len1056_dim1_sp_op_CI_CI
	.globl	bluestein_single_back_len1056_dim1_sp_op_CI_CI
	.p2align	8
	.type	bluestein_single_back_len1056_dim1_sp_op_CI_CI,@function
bluestein_single_back_len1056_dim1_sp_op_CI_CI: ; @bluestein_single_back_len1056_dim1_sp_op_CI_CI
; %bb.0:
	s_load_dwordx4 s[16:19], s[4:5], 0x28
	v_mul_u32_u24_e32 v1, 0x175, v0
	v_add_u32_sdwa v50, s6, v1 dst_sel:DWORD dst_unused:UNUSED_PAD src0_sel:DWORD src1_sel:WORD_1
	v_mov_b32_e32 v51, 0
	s_waitcnt lgkmcnt(0)
	v_cmp_gt_u64_e32 vcc, s[16:17], v[50:51]
	s_and_saveexec_b64 s[0:1], vcc
	s_cbranch_execz .LBB0_10
; %bb.1:
	s_load_dwordx4 s[0:3], s[4:5], 0x18
	s_load_dwordx4 s[12:15], s[4:5], 0x0
	v_mov_b32_e32 v10, 0xfffff500
                                        ; implicit-def: $vgpr46
                                        ; implicit-def: $vgpr32
                                        ; implicit-def: $vgpr36
	s_waitcnt lgkmcnt(0)
	s_load_dwordx4 s[8:11], s[0:1], 0x0
	s_movk_i32 s0, 0xb0
	v_mul_lo_u16_sdwa v1, v1, s0 dst_sel:DWORD dst_unused:UNUSED_PAD src0_sel:WORD_1 src1_sel:DWORD
	v_sub_u16_e32 v65, v0, v1
	v_lshlrev_b32_e32 v66, 3, v65
	s_waitcnt lgkmcnt(0)
	v_mad_u64_u32 v[0:1], s[0:1], s10, v50, 0
	v_mad_u64_u32 v[2:3], s[0:1], s8, v65, 0
	s_mul_i32 s6, s9, 0x1080
	s_mul_hi_u32 s7, s8, 0x1080
	v_mad_u64_u32 v[4:5], s[0:1], s11, v50, v[1:2]
	s_add_i32 s10, s7, s6
	s_mul_i32 s11, s8, 0x1080
	v_mad_u64_u32 v[5:6], s[0:1], s9, v65, v[3:4]
	v_mov_b32_e32 v1, v4
	v_lshlrev_b64 v[0:1], 3, v[0:1]
	v_mov_b32_e32 v6, s19
	v_mov_b32_e32 v3, v5
	v_add_co_u32_e32 v4, vcc, s18, v0
	v_addc_co_u32_e32 v5, vcc, v6, v1, vcc
	v_lshlrev_b64 v[0:1], 3, v[2:3]
	v_mov_b32_e32 v2, s13
	v_add_co_u32_e32 v0, vcc, v4, v0
	v_add_co_u32_e64 v68, s[0:1], s12, v66
	v_addc_co_u32_e32 v1, vcc, v5, v1, vcc
	v_addc_co_u32_e64 v8, vcc, 0, v2, s[0:1]
	v_mov_b32_e32 v3, s10
	v_add_co_u32_e32 v2, vcc, s11, v0
	v_addc_co_u32_e32 v3, vcc, v1, v3, vcc
	s_movk_i32 s6, 0x1000
	global_load_dwordx2 v[4:5], v[0:1], off
	global_load_dwordx2 v[6:7], v[2:3], off
	v_add_co_u32_e32 v0, vcc, s6, v68
	v_mad_u64_u32 v[2:3], s[6:7], s8, v10, v[2:3]
	s_mul_i32 s6, s9, 0xfffff500
	v_addc_co_u32_e32 v1, vcc, 0, v8, vcc
	s_sub_i32 s9, s6, s8
	global_load_dwordx2 v[57:58], v[0:1], off offset:128
	v_add_u32_e32 v3, s9, v3
	global_load_dwordx2 v[59:60], v66, s[12:13]
	global_load_dwordx2 v[8:9], v[2:3], off
	global_load_dwordx2 v[55:56], v66, s[12:13] offset:1408
	v_mov_b32_e32 v11, s10
	v_add_co_u32_e32 v2, vcc, s11, v2
	v_addc_co_u32_e32 v3, vcc, v3, v11, vcc
	v_mad_u64_u32 v[10:11], s[6:7], s8, v10, v[2:3]
	global_load_dwordx2 v[12:13], v[2:3], off
	global_load_dwordx2 v[53:54], v[0:1], off offset:1536
	v_mov_b32_e32 v14, s10
	v_add_u32_e32 v11, s9, v11
	global_load_dwordx2 v[2:3], v[10:11], off
	global_load_dwordx2 v[51:52], v66, s[12:13] offset:2816
	v_add_co_u32_e32 v10, vcc, s11, v10
	v_addc_co_u32_e32 v11, vcc, v11, v14, vcc
	global_load_dwordx2 v[48:49], v[0:1], off offset:2944
	global_load_dwordx2 v[14:15], v[10:11], off
	v_add_u32_e32 v20, 0x1400, v66
	v_add_u32_e32 v21, 0xa00, v66
	s_load_dwordx4 s[8:11], s[2:3], 0x0
	v_lshlrev_b32_e32 v22, 1, v65
	v_lshlrev_b32_e32 v69, 4, v65
	s_movk_i32 s2, 0x1fc
	s_movk_i32 s3, 0x3fc
	s_movk_i32 s6, 0x7fc
	v_add_u32_e32 v61, 0x160, v22
	v_add_u32_e32 v62, 0x2c0, v22
	s_movk_i32 s7, 0x60
	v_cmp_gt_u16_e32 vcc, s7, v65
	s_waitcnt vmcnt(8)
	v_mul_f32_e32 v0, v5, v60
	v_mul_f32_e32 v1, v4, v60
	v_fmac_f32_e32 v0, v4, v59
	v_fma_f32 v1, v5, v59, -v1
	v_mul_f32_e32 v4, v7, v58
	v_mul_f32_e32 v5, v6, v58
	v_fmac_f32_e32 v4, v6, v57
	v_fma_f32 v5, v7, v57, -v5
	ds_write_b64 v66, v[4:5] offset:4224
	s_waitcnt vmcnt(6)
	v_mul_f32_e32 v4, v9, v56
	v_mul_f32_e32 v5, v8, v56
	v_fmac_f32_e32 v4, v8, v55
	v_fma_f32 v5, v9, v55, -v5
	ds_write2_b64 v66, v[0:1], v[4:5] offset1:176
	s_waitcnt vmcnt(2)
	v_mul_f32_e32 v0, v3, v52
	v_mul_f32_e32 v1, v2, v52
	;; [unrolled: 1-line block ×4, first 2 shown]
	v_fmac_f32_e32 v0, v2, v51
	v_fma_f32 v1, v3, v51, -v1
	s_waitcnt vmcnt(0)
	v_mul_f32_e32 v2, v15, v49
	v_mul_f32_e32 v3, v14, v49
	v_fmac_f32_e32 v6, v12, v53
	v_fma_f32 v7, v13, v53, -v7
	v_fmac_f32_e32 v2, v14, v48
	v_fma_f32 v3, v15, v48, -v3
	ds_write_b64 v66, v[0:1] offset:2816
	ds_write2_b64 v20, v[6:7], v[2:3] offset0:64 offset1:240
	s_waitcnt lgkmcnt(0)
	s_barrier
	ds_read2_b64 v[0:3], v66 offset1:176
	ds_read2_b64 v[4:7], v21 offset0:32 offset1:208
	ds_read2_b64 v[8:11], v20 offset0:64 offset1:240
	s_waitcnt lgkmcnt(0)
	s_barrier
	v_sub_f32_e32 v14, v0, v6
	v_sub_f32_e32 v15, v1, v7
	;; [unrolled: 1-line block ×5, first 2 shown]
	v_fma_f32 v12, v0, 2.0, -v14
	v_fma_f32 v13, v1, 2.0, -v15
	;; [unrolled: 1-line block ×4, first 2 shown]
	v_sub_f32_e32 v19, v5, v11
	v_lshlrev_b32_e32 v0, 3, v22
	v_fma_f32 v16, v4, 2.0, -v18
	v_fma_f32 v17, v5, 2.0, -v19
	ds_write_b128 v69, v[12:15]
	ds_write_b128 v0, v[6:9] offset:2816
	ds_write_b128 v0, v[16:19] offset:5632
	v_and_b32_e32 v0, 1, v65
	v_lshlrev_b32_e32 v1, 3, v0
	s_waitcnt lgkmcnt(0)
	s_barrier
	global_load_dwordx2 v[40:41], v1, s[14:15]
	v_and_or_b32 v1, v22, s2, v0
	v_lshlrev_b32_e32 v72, 3, v1
	v_and_or_b32 v1, v61, s3, v0
	v_and_or_b32 v0, v62, s6, v0
	v_lshlrev_b32_e32 v71, 3, v1
	v_lshlrev_b32_e32 v70, 3, v0
	ds_read2_b64 v[0:3], v20 offset0:64 offset1:240
	ds_read2_b64 v[4:7], v21 offset0:32 offset1:208
	ds_read2_b64 v[8:11], v66 offset1:176
	v_and_b32_e32 v12, 3, v65
	v_lshlrev_b32_e32 v13, 3, v12
	s_waitcnt vmcnt(0) lgkmcnt(0)
	s_barrier
	s_movk_i32 s2, 0x1f8
	s_movk_i32 s3, 0x3f8
	;; [unrolled: 1-line block ×3, first 2 shown]
	v_mul_f32_e32 v14, v1, v41
	v_mul_f32_e32 v18, v7, v41
	;; [unrolled: 1-line block ×6, first 2 shown]
	v_fma_f32 v14, v0, v40, -v14
	v_fma_f32 v0, v6, v40, -v18
	v_fmac_f32_e32 v19, v7, v40
	v_fmac_f32_e32 v15, v1, v40
	v_fma_f32 v16, v2, v40, -v16
	v_fmac_f32_e32 v17, v3, v40
	v_sub_f32_e32 v0, v8, v0
	v_sub_f32_e32 v1, v9, v19
	;; [unrolled: 1-line block ×6, first 2 shown]
	v_fma_f32 v8, v8, 2.0, -v0
	v_fma_f32 v9, v9, 2.0, -v1
	;; [unrolled: 1-line block ×6, first 2 shown]
	ds_write2_b64 v72, v[8:9], v[0:1] offset1:2
	ds_write2_b64 v71, v[10:11], v[2:3] offset1:2
	;; [unrolled: 1-line block ×3, first 2 shown]
	s_waitcnt lgkmcnt(0)
	s_barrier
	global_load_dwordx2 v[42:43], v13, s[14:15] offset:16
	v_and_or_b32 v0, v22, s2, v12
	v_lshlrev_b32_e32 v75, 3, v0
	v_and_or_b32 v0, v61, s3, v12
	v_and_or_b32 v1, v62, s6, v12
	v_lshlrev_b32_e32 v74, 3, v0
	v_lshlrev_b32_e32 v73, 3, v1
	ds_read2_b64 v[0:3], v20 offset0:64 offset1:240
	ds_read2_b64 v[4:7], v21 offset0:32 offset1:208
	ds_read2_b64 v[8:11], v66 offset1:176
	v_and_b32_e32 v13, 7, v65
	v_lshlrev_b32_e32 v14, 3, v13
	s_waitcnt vmcnt(0) lgkmcnt(0)
	s_barrier
	s_load_dwordx2 s[2:3], s[4:5], 0x38
	s_movk_i32 s4, 0x1f0
	s_movk_i32 s5, 0x3f0
	;; [unrolled: 1-line block ×3, first 2 shown]
	v_mul_f32_e32 v12, v1, v43
	v_mul_f32_e32 v18, v7, v43
	v_mul_f32_e32 v19, v6, v43
	v_mul_f32_e32 v15, v0, v43
	v_mul_f32_e32 v16, v3, v43
	v_mul_f32_e32 v17, v2, v43
	v_fma_f32 v12, v0, v42, -v12
	v_fma_f32 v0, v6, v42, -v18
	v_fmac_f32_e32 v19, v7, v42
	v_fmac_f32_e32 v15, v1, v42
	v_fma_f32 v16, v2, v42, -v16
	v_fmac_f32_e32 v17, v3, v42
	v_sub_f32_e32 v0, v8, v0
	v_sub_f32_e32 v1, v9, v19
	;; [unrolled: 1-line block ×6, first 2 shown]
	v_fma_f32 v8, v8, 2.0, -v0
	v_fma_f32 v9, v9, 2.0, -v1
	;; [unrolled: 1-line block ×6, first 2 shown]
	ds_write2_b64 v75, v[8:9], v[0:1] offset1:4
	ds_write2_b64 v74, v[10:11], v[2:3] offset1:4
	;; [unrolled: 1-line block ×3, first 2 shown]
	s_waitcnt lgkmcnt(0)
	s_barrier
	global_load_dwordx2 v[44:45], v14, s[14:15] offset:48
	v_and_or_b32 v0, v22, s4, v13
	v_lshlrev_b32_e32 v78, 3, v0
	v_and_or_b32 v0, v61, s5, v13
	v_and_or_b32 v1, v62, s6, v13
	v_lshlrev_b32_e32 v77, 3, v0
	v_lshlrev_b32_e32 v76, 3, v1
	ds_read2_b64 v[0:3], v20 offset0:64 offset1:240
	ds_read2_b64 v[4:7], v21 offset0:32 offset1:208
	ds_read2_b64 v[8:11], v66 offset1:176
	s_waitcnt vmcnt(0) lgkmcnt(0)
	s_barrier
	v_mul_f32_e32 v12, v1, v45
	v_mul_f32_e32 v13, v0, v45
	;; [unrolled: 1-line block ×6, first 2 shown]
	v_fma_f32 v0, v0, v44, -v12
	v_fmac_f32_e32 v13, v1, v44
	v_fma_f32 v1, v2, v44, -v14
	v_fmac_f32_e32 v15, v3, v44
	;; [unrolled: 2-line block ×3, first 2 shown]
	v_sub_f32_e32 v22, v8, v2
	v_sub_f32_e32 v23, v9, v17
	;; [unrolled: 1-line block ×6, first 2 shown]
	v_fma_f32 v20, v8, 2.0, -v22
	v_fma_f32 v21, v9, 2.0, -v23
	;; [unrolled: 1-line block ×6, first 2 shown]
	ds_write2_b64 v78, v[20:21], v[22:23] offset1:8
	ds_write2_b64 v77, v[24:25], v[26:27] offset1:8
	;; [unrolled: 1-line block ×3, first 2 shown]
	s_waitcnt lgkmcnt(0)
	s_barrier
	s_and_saveexec_b64 s[4:5], vcc
	s_cbranch_execz .LBB0_3
; %bb.2:
	v_add_u32_e32 v0, 0x400, v66
	ds_read2_b64 v[24:27], v0 offset0:64 offset1:160
	v_add_u32_e32 v0, 0x800, v66
	ds_read2_b64 v[28:31], v0 offset0:128 offset1:224
	;; [unrolled: 2-line block ×3, first 2 shown]
	v_add_u32_e32 v0, 0x1800, v66
	ds_read2_b64 v[20:23], v66 offset1:96
	ds_read2_b64 v[36:39], v0 offset1:96
	ds_read_b64 v[46:47], v66 offset:7680
.LBB0_3:
	s_or_b64 exec, exec, s[4:5]
	v_mov_b32_e32 v0, s14
	v_and_b32_e32 v67, 15, v65
	s_movk_i32 s4, 0x50
	v_mov_b32_e32 v1, s15
	v_mad_u64_u32 v[63:64], s[4:5], v67, s4, v[0:1]
	global_load_dwordx4 v[12:15], v[63:64], off offset:112
	global_load_dwordx4 v[8:11], v[63:64], off offset:128
	;; [unrolled: 1-line block ×5, first 2 shown]
	s_mov_b32 s4, 0x3f575c64
	s_mov_b32 s5, 0x3ed4b147
	;; [unrolled: 1-line block ×5, first 2 shown]
	s_waitcnt vmcnt(0) lgkmcnt(0)
	s_barrier
	v_mul_f32_e32 v63, v23, v13
	v_mul_f32_e32 v80, v22, v13
	;; [unrolled: 1-line block ×13, first 2 shown]
	v_fmac_f32_e32 v82, v27, v8
	v_fma_f32 v27, v30, v0, -v91
	v_fma_f32 v91, v22, v12, -v63
	v_fmac_f32_e32 v80, v23, v12
	v_fmac_f32_e32 v88, v39, v16
	v_fma_f32 v39, v46, v18, -v96
	v_fmac_f32_e32 v89, v47, v18
	v_mul_f32_e32 v90, v29, v11
	v_mul_f32_e32 v94, v37, v7
	;; [unrolled: 1-line block ×3, first 2 shown]
	v_fma_f32 v24, v24, v14, -v64
	v_fmac_f32_e32 v81, v25, v14
	v_fma_f32 v22, v32, v2, -v92
	v_fmac_f32_e32 v85, v33, v2
	v_fma_f32 v38, v38, v16, -v95
	v_sub_f32_e32 v33, v91, v39
	v_sub_f32_e32 v32, v80, v89
	v_mul_f32_e32 v83, v28, v11
	v_mul_f32_e32 v93, v35, v5
	v_mul_f32_e32 v86, v34, v5
	v_fma_f32 v25, v26, v8, -v79
	v_fma_f32 v26, v28, v10, -v90
	v_fma_f32 v90, v36, v6, -v94
	v_fmac_f32_e32 v87, v37, v6
	v_add_f32_e32 v115, v80, v89
	v_sub_f32_e32 v36, v24, v38
	v_sub_f32_e32 v37, v81, v88
	v_mul_f32_e32 v46, 0xbf0a6770, v32
	v_mul_f32_e32 v96, 0xbf0a6770, v33
	v_mul_f32_e32 v84, v30, v1
	v_fmac_f32_e32 v83, v29, v10
	v_fma_f32 v23, v34, v4, -v93
	v_fmac_f32_e32 v86, v35, v4
	v_add_f32_e32 v114, v91, v39
	v_add_f32_e32 v111, v81, v88
	v_sub_f32_e32 v79, v25, v90
	v_sub_f32_e32 v142, v82, v87
	v_mul_f32_e32 v94, 0xbf68dda4, v36
	v_mul_f32_e32 v92, 0xbf68dda4, v37
	v_fma_f32 v28, v115, s4, -v96
	v_mov_b32_e32 v30, v46
	v_fmac_f32_e32 v84, v31, v0
	v_add_f32_e32 v110, v24, v38
	v_add_f32_e32 v105, v82, v87
	v_sub_f32_e32 v143, v83, v86
	v_sub_f32_e32 v148, v26, v23
	v_mul_f32_e32 v95, 0xbf7d64f0, v79
	v_mul_f32_e32 v93, 0xbf7d64f0, v142
	v_fma_f32 v29, v111, s5, -v94
	v_mov_b32_e32 v31, v92
	v_add_f32_e32 v28, v21, v28
	v_fmac_f32_e32 v30, 0x3f575c64, v114
	v_add_f32_e32 v107, v25, v90
	v_add_f32_e32 v103, v83, v86
	v_mul_f32_e32 v47, 0xbf4178ce, v143
	v_fma_f32 v34, v105, s6, -v95
	v_mov_b32_e32 v35, v93
	v_fmac_f32_e32 v31, 0x3ed4b147, v110
	v_add_f32_e32 v28, v29, v28
	v_add_f32_e32 v29, v20, v30
	v_mul_f32_e32 v97, 0xbf4178ce, v148
	v_sub_f32_e32 v144, v84, v85
	v_add_f32_e32 v102, v26, v23
	v_mov_b32_e32 v63, v47
	v_fmac_f32_e32 v35, 0xbe11bafb, v107
	v_add_f32_e32 v29, v31, v29
	v_add_f32_e32 v28, v34, v28
	v_fma_f32 v30, v103, s7, -v97
	v_mul_f32_e32 v98, 0xbe903f40, v144
	v_fmac_f32_e32 v63, 0xbf27a4f4, v102
	v_add_f32_e32 v29, v35, v29
	v_add_f32_e32 v28, v30, v28
	;; [unrolled: 1-line block ×3, first 2 shown]
	v_mov_b32_e32 v30, v98
	v_sub_f32_e32 v149, v27, v22
	v_add_f32_e32 v29, v63, v29
	v_fmac_f32_e32 v30, 0xbf75a155, v119
	v_add_f32_e32 v124, v84, v85
	v_mul_f32_e32 v99, 0xbe903f40, v149
	v_add_f32_e32 v63, v30, v29
	v_fma_f32 v29, v124, s12, -v99
	v_mul_f32_e32 v100, 0xbf68dda4, v32
	v_add_f32_e32 v64, v29, v28
	v_mov_b32_e32 v28, v100
	v_mul_f32_e32 v101, 0xbf4178ce, v37
	v_fmac_f32_e32 v28, 0x3ed4b147, v114
	v_mov_b32_e32 v29, v101
	v_add_f32_e32 v28, v20, v28
	v_fmac_f32_e32 v29, 0xbf27a4f4, v110
	v_mul_f32_e32 v108, 0xbf68dda4, v33
	v_add_f32_e32 v28, v29, v28
	v_fma_f32 v29, v115, s5, -v108
	v_mul_f32_e32 v109, 0xbf4178ce, v36
	v_add_f32_e32 v29, v21, v29
	v_fma_f32 v30, v111, s7, -v109
	v_mul_f32_e32 v104, 0x3e903f40, v142
	v_add_f32_e32 v29, v30, v29
	v_mov_b32_e32 v30, v104
	v_fmac_f32_e32 v30, 0xbf75a155, v107
	v_mul_f32_e32 v113, 0x3e903f40, v79
	v_add_f32_e32 v28, v30, v28
	v_fma_f32 v30, v105, s12, -v113
	v_mul_f32_e32 v106, 0x3f7d64f0, v143
	v_add_f32_e32 v29, v30, v29
	v_mov_b32_e32 v30, v106
	v_fmac_f32_e32 v30, 0xbe11bafb, v102
	;; [unrolled: 7-line block ×3, first 2 shown]
	v_mul_f32_e32 v117, 0x3f0a6770, v149
	v_mul_f32_e32 v118, 0xbf7d64f0, v32
	v_fma_f32 v31, v124, s4, -v117
	v_add_f32_e32 v30, v30, v28
	v_mov_b32_e32 v28, v118
	v_mul_f32_e32 v120, 0x3e903f40, v37
	v_add_f32_e32 v31, v31, v29
	v_fmac_f32_e32 v28, 0xbe11bafb, v114
	v_mov_b32_e32 v29, v120
	v_add_f32_e32 v28, v20, v28
	v_fmac_f32_e32 v29, 0xbf75a155, v110
	v_mul_f32_e32 v121, 0x3f68dda4, v142
	v_add_f32_e32 v28, v29, v28
	v_mov_b32_e32 v29, v121
	v_fmac_f32_e32 v29, 0x3ed4b147, v107
	v_mul_f32_e32 v122, 0xbf0a6770, v143
	v_add_f32_e32 v28, v29, v28
	v_mov_b32_e32 v29, v122
	;; [unrolled: 4-line block ×3, first 2 shown]
	v_fmac_f32_e32 v29, 0xbf27a4f4, v119
	v_mul_f32_e32 v125, 0xbf7d64f0, v33
	v_add_f32_e32 v28, v29, v28
	v_fma_f32 v29, v115, s6, -v125
	v_mul_f32_e32 v126, 0x3e903f40, v36
	v_add_f32_e32 v29, v21, v29
	v_fma_f32 v34, v111, s12, -v126
	;; [unrolled: 3-line block ×5, first 2 shown]
	v_mul_f32_e32 v130, 0xbf4178ce, v32
	v_add_f32_e32 v29, v34, v29
	v_mov_b32_e32 v34, v130
	v_mul_f32_e32 v131, 0x3f7d64f0, v37
	v_fmac_f32_e32 v34, 0xbf27a4f4, v114
	v_mov_b32_e32 v35, v131
	v_add_f32_e32 v34, v20, v34
	v_fmac_f32_e32 v35, 0xbe11bafb, v110
	v_mul_f32_e32 v134, 0xbf4178ce, v33
	v_add_f32_e32 v34, v35, v34
	v_fma_f32 v35, v115, s7, -v134
	v_mul_f32_e32 v135, 0x3f7d64f0, v36
	v_add_f32_e32 v35, v21, v35
	v_fma_f32 v132, v111, s6, -v135
	v_add_f32_e32 v35, v132, v35
	v_mul_f32_e32 v132, 0xbf0a6770, v142
	v_mov_b32_e32 v133, v132
	v_fmac_f32_e32 v133, 0x3f575c64, v107
	v_mul_f32_e32 v137, 0xbf0a6770, v79
	v_add_f32_e32 v34, v133, v34
	v_fma_f32 v133, v105, s4, -v137
	v_add_f32_e32 v35, v133, v35
	v_mul_f32_e32 v133, 0xbe903f40, v143
	v_mov_b32_e32 v136, v133
	v_fmac_f32_e32 v136, 0xbf75a155, v102
	;; [unrolled: 7-line block ×3, first 2 shown]
	v_mul_f32_e32 v139, 0x3f68dda4, v149
	v_fma_f32 v141, v124, s5, -v139
	v_add_f32_e32 v34, v140, v34
	v_mul_f32_e32 v140, 0xbe903f40, v32
	v_add_f32_e32 v35, v141, v35
	v_mov_b32_e32 v32, v140
	v_mul_f32_e32 v141, 0x3f0a6770, v37
	v_fmac_f32_e32 v32, 0xbf75a155, v114
	v_mov_b32_e32 v37, v141
	v_add_f32_e32 v32, v20, v32
	v_fmac_f32_e32 v37, 0x3f575c64, v110
	v_mul_f32_e32 v142, 0xbf4178ce, v142
	v_add_f32_e32 v32, v37, v32
	v_mov_b32_e32 v37, v142
	v_mul_f32_e32 v145, 0xbe903f40, v33
	v_fmac_f32_e32 v37, 0xbf27a4f4, v107
	v_mul_f32_e32 v143, 0x3f68dda4, v143
	v_fma_f32 v33, v115, s12, -v145
	v_mul_f32_e32 v146, 0x3f0a6770, v36
	v_add_f32_e32 v32, v37, v32
	v_mov_b32_e32 v37, v143
	v_add_f32_e32 v33, v21, v33
	v_fma_f32 v36, v111, s4, -v146
	v_mul_f32_e32 v147, 0xbf4178ce, v79
	v_fmac_f32_e32 v37, 0x3ed4b147, v102
	v_mul_f32_e32 v144, 0xbf7d64f0, v144
	v_add_f32_e32 v33, v36, v33
	v_fma_f32 v36, v105, s7, -v147
	v_mul_f32_e32 v148, 0x3f68dda4, v148
	v_add_f32_e32 v32, v37, v32
	v_mov_b32_e32 v37, v144
	v_add_f32_e32 v33, v36, v33
	v_fma_f32 v36, v103, s5, -v148
	v_mul_f32_e32 v149, 0xbf7d64f0, v149
	v_fmac_f32_e32 v37, 0xbe11bafb, v119
	v_add_f32_e32 v33, v36, v33
	v_fma_f32 v36, v124, s6, -v149
	v_add_f32_e32 v32, v37, v32
	v_add_f32_e32 v33, v36, v33
	v_lshlrev_b32_e32 v37, 3, v61
	v_lshlrev_b32_e32 v36, 3, v62
	v_lshrrev_b32_e32 v79, 4, v65
	s_and_saveexec_b64 s[4:5], vcc
	s_cbranch_execz .LBB0_5
; %bb.4:
	v_mul_f32_e32 v62, 0xbf75a155, v115
	v_mul_f32_e32 v151, 0x3f575c64, v115
	;; [unrolled: 1-line block ×10, first 2 shown]
	v_add_f32_e32 v62, v145, v62
	v_mul_f32_e32 v165, 0xbe11bafb, v105
	v_mul_f32_e32 v167, 0xbf75a155, v105
	;; [unrolled: 1-line block ×5, first 2 shown]
	v_add_f32_e32 v62, v21, v62
	v_add_f32_e32 v111, v146, v111
	v_mul_f32_e32 v173, 0xbf27a4f4, v103
	v_mul_f32_e32 v175, 0xbe11bafb, v103
	;; [unrolled: 1-line block ×5, first 2 shown]
	v_add_f32_e32 v62, v111, v62
	v_add_f32_e32 v105, v147, v105
	v_mul_f32_e32 v61, 0xbf75a155, v114
	v_mul_f32_e32 v181, 0xbf75a155, v124
	v_mul_f32_e32 v183, 0x3f575c64, v124
	v_mul_f32_e32 v185, 0xbf27a4f4, v124
	v_mul_f32_e32 v187, 0x3ed4b147, v124
	v_mul_f32_e32 v124, 0xbe11bafb, v124
	v_add_f32_e32 v62, v105, v62
	v_add_f32_e32 v103, v148, v103
	v_mul_f32_e32 v150, 0x3f575c64, v114
	v_mul_f32_e32 v152, 0x3ed4b147, v114
	;; [unrolled: 1-line block ×9, first 2 shown]
	v_add_f32_e32 v62, v103, v62
	v_add_f32_e32 v103, v149, v124
	v_sub_f32_e32 v61, v61, v140
	v_mul_f32_e32 v164, 0xbe11bafb, v107
	v_mul_f32_e32 v166, 0xbf75a155, v107
	;; [unrolled: 1-line block ×5, first 2 shown]
	v_add_f32_e32 v62, v103, v62
	v_add_f32_e32 v61, v20, v61
	v_sub_f32_e32 v103, v110, v141
	v_mul_f32_e32 v172, 0xbf27a4f4, v102
	v_mul_f32_e32 v174, 0xbe11bafb, v102
	;; [unrolled: 1-line block ×5, first 2 shown]
	v_add_f32_e32 v61, v103, v61
	v_sub_f32_e32 v103, v107, v142
	v_mul_f32_e32 v180, 0xbf75a155, v119
	v_mul_f32_e32 v182, 0x3f575c64, v119
	;; [unrolled: 1-line block ×5, first 2 shown]
	v_add_f32_e32 v61, v103, v61
	v_sub_f32_e32 v102, v102, v143
	v_add_f32_e32 v61, v102, v61
	v_sub_f32_e32 v102, v119, v144
	v_add_f32_e32 v61, v102, v61
	v_add_f32_e32 v102, v134, v157
	;; [unrolled: 1-line block ×11, first 2 shown]
	v_sub_f32_e32 v102, v156, v130
	v_add_f32_e32 v102, v20, v102
	v_sub_f32_e32 v105, v162, v131
	v_add_f32_e32 v102, v105, v102
	v_sub_f32_e32 v105, v170, v132
	v_add_f32_e32 v102, v105, v102
	v_sub_f32_e32 v105, v178, v133
	v_add_f32_e32 v102, v105, v102
	v_sub_f32_e32 v105, v186, v136
	v_add_f32_e32 v102, v105, v102
	v_add_f32_e32 v105, v125, v155
	v_add_f32_e32 v105, v21, v105
	;; [unrolled: 1-line block ×10, first 2 shown]
	v_sub_f32_e32 v105, v154, v118
	v_add_f32_e32 v105, v20, v105
	v_sub_f32_e32 v107, v160, v120
	v_add_f32_e32 v105, v107, v105
	;; [unrolled: 2-line block ×5, first 2 shown]
	v_add_f32_e32 v105, v108, v153
	v_sub_f32_e32 v100, v152, v100
	v_add_f32_e32 v96, v96, v151
	v_sub_f32_e32 v46, v150, v46
	v_add_f32_e32 v105, v21, v105
	v_add_f32_e32 v100, v20, v100
	;; [unrolled: 1-line block ×15, first 2 shown]
	v_sub_f32_e32 v92, v114, v92
	v_add_f32_e32 v21, v21, v85
	v_add_f32_e32 v20, v20, v22
	v_add_f32_e32 v107, v109, v159
	v_sub_f32_e32 v101, v158, v101
	v_add_f32_e32 v94, v94, v96
	v_add_f32_e32 v95, v95, v165
	v_add_f32_e32 v46, v92, v46
	;; [unrolled: 4-line block ×3, first 2 shown]
	v_add_f32_e32 v107, v113, v167
	v_add_f32_e32 v100, v101, v100
	v_sub_f32_e32 v101, v166, v104
	v_add_f32_e32 v94, v95, v94
	v_add_f32_e32 v95, v97, v173
	;; [unrolled: 1-line block ×3, first 2 shown]
	v_sub_f32_e32 v47, v172, v47
	v_add_f32_e32 v21, v21, v87
	v_add_f32_e32 v20, v20, v90
	v_mul_u32_u24_e32 v22, 0xb0, v79
	v_add_f32_e32 v105, v107, v105
	v_add_f32_e32 v107, v116, v175
	v_add_f32_e32 v100, v101, v100
	v_sub_f32_e32 v101, v174, v106
	v_add_f32_e32 v94, v95, v94
	v_add_f32_e32 v95, v99, v181
	;; [unrolled: 1-line block ×3, first 2 shown]
	v_sub_f32_e32 v47, v180, v98
	v_add_f32_e32 v21, v21, v88
	v_add_f32_e32 v20, v20, v38
	v_or_b32_e32 v22, v22, v67
	v_add_f32_e32 v105, v107, v105
	v_add_f32_e32 v107, v117, v183
	;; [unrolled: 1-line block ×3, first 2 shown]
	v_sub_f32_e32 v101, v182, v112
	v_add_f32_e32 v94, v95, v94
	v_add_f32_e32 v93, v47, v46
	;; [unrolled: 1-line block ×4, first 2 shown]
	v_lshlrev_b32_e32 v22, 3, v22
	v_add_f32_e32 v105, v107, v105
	v_add_f32_e32 v104, v101, v100
	ds_write2_b64 v22, v[20:21], v[93:94] offset1:16
	ds_write2_b64 v22, v[104:105], v[110:111] offset0:32 offset1:48
	ds_write2_b64 v22, v[102:103], v[61:62] offset0:64 offset1:80
	;; [unrolled: 1-line block ×4, first 2 shown]
	ds_write_b64 v22, v[63:64] offset:1280
.LBB0_5:
	s_or_b64 exec, exec, s[4:5]
	v_mad_u64_u32 v[38:39], s[4:5], v65, 40, s[14:15]
	s_waitcnt lgkmcnt(0)
	s_barrier
	global_load_dwordx4 v[24:27], v[38:39], off offset:1392
	global_load_dwordx4 v[20:23], v[38:39], off offset:1408
	global_load_dwordx2 v[61:62], v[38:39], off offset:1424
	v_add_u32_e32 v103, 0xa00, v66
	v_add_u32_e32 v104, 0x1400, v66
	ds_read2_b64 v[80:83], v66 offset1:176
	ds_read2_b64 v[84:87], v103 offset0:32 offset1:208
	ds_read2_b64 v[88:91], v104 offset0:64 offset1:240
	v_mov_b32_e32 v38, s13
	v_addc_co_u32_e64 v92, s[0:1], 0, v38, s[0:1]
	s_movk_i32 s0, 0x2000
	s_movk_i32 s4, 0x2100
	s_waitcnt vmcnt(2) lgkmcnt(2)
	v_mul_f32_e32 v38, v83, v25
	v_mul_f32_e32 v93, v82, v25
	s_waitcnt lgkmcnt(1)
	v_mul_f32_e32 v39, v85, v27
	s_waitcnt vmcnt(1)
	v_mul_f32_e32 v47, v87, v21
	v_mul_f32_e32 v94, v86, v21
	s_waitcnt lgkmcnt(0)
	v_mul_f32_e32 v95, v89, v23
	s_waitcnt vmcnt(0)
	v_mul_f32_e32 v97, v91, v62
	v_mul_f32_e32 v98, v90, v62
	;; [unrolled: 1-line block ×4, first 2 shown]
	v_fma_f32 v82, v82, v24, -v38
	v_fmac_f32_e32 v93, v83, v24
	v_fma_f32 v38, v84, v26, -v39
	v_fma_f32 v39, v86, v20, -v47
	v_fmac_f32_e32 v94, v87, v20
	v_fma_f32 v47, v88, v22, -v95
	v_fma_f32 v83, v90, v61, -v97
	v_fmac_f32_e32 v98, v91, v61
	v_fmac_f32_e32 v46, v85, v26
	;; [unrolled: 1-line block ×3, first 2 shown]
	v_add_f32_e32 v84, v80, v38
	v_add_f32_e32 v85, v38, v47
	;; [unrolled: 1-line block ×3, first 2 shown]
	v_sub_f32_e32 v90, v94, v98
	v_add_f32_e32 v91, v93, v94
	v_add_f32_e32 v94, v94, v98
	v_sub_f32_e32 v86, v46, v96
	v_add_f32_e32 v87, v81, v46
	v_add_f32_e32 v46, v46, v96
	;; [unrolled: 3-line block ×3, first 2 shown]
	v_fma_f32 v84, -0.5, v85, v80
	v_fmac_f32_e32 v82, -0.5, v89
	v_fmac_f32_e32 v93, -0.5, v94
	v_sub_f32_e32 v95, v39, v83
	v_add_f32_e32 v80, v87, v96
	v_fma_f32 v85, -0.5, v46, v81
	v_add_f32_e32 v46, v38, v83
	v_add_f32_e32 v81, v91, v98
	v_mov_b32_e32 v87, v84
	v_mov_b32_e32 v83, v82
	v_fmac_f32_e32 v82, 0xbf5db3d7, v90
	v_mov_b32_e32 v91, v93
	v_fmac_f32_e32 v84, 0xbf5db3d7, v86
	;; [unrolled: 2-line block ×3, first 2 shown]
	v_fmac_f32_e32 v87, 0x3f5db3d7, v86
	v_fmac_f32_e32 v83, 0x3f5db3d7, v90
	;; [unrolled: 1-line block ×3, first 2 shown]
	v_mul_f32_e32 v86, -0.5, v82
	v_fmac_f32_e32 v85, 0x3f5db3d7, v88
	v_fmac_f32_e32 v89, 0xbf5db3d7, v88
	v_mul_f32_e32 v88, -0.5, v93
	v_mul_f32_e32 v90, 0x3f5db3d7, v91
	v_fmac_f32_e32 v86, 0x3f5db3d7, v93
	v_mul_f32_e32 v93, 0xbf5db3d7, v83
	v_fmac_f32_e32 v88, 0xbf5db3d7, v82
	v_fmac_f32_e32 v90, 0.5, v83
	v_fmac_f32_e32 v93, 0.5, v91
	v_add_f32_e32 v38, v47, v46
	v_add_f32_e32 v39, v80, v81
	v_sub_f32_e32 v46, v47, v46
	v_sub_f32_e32 v47, v80, v81
	v_add_f32_e32 v80, v84, v86
	v_add_f32_e32 v81, v85, v88
	v_sub_f32_e32 v82, v84, v86
	v_sub_f32_e32 v83, v85, v88
	;; [unrolled: 4-line block ×3, first 2 shown]
	ds_write2_b64 v66, v[38:39], v[84:85] offset1:176
	ds_write2_b64 v103, v[80:81], v[46:47] offset0:32 offset1:208
	ds_write2_b64 v104, v[86:87], v[82:83] offset0:64 offset1:240
	v_add_co_u32_e64 v38, s[0:1], s0, v68
	v_addc_co_u32_e64 v39, s[0:1], 0, v92, s[0:1]
	s_waitcnt lgkmcnt(0)
	s_barrier
	global_load_dwordx2 v[38:39], v[38:39], off offset:256
	v_add_co_u32_e64 v46, s[0:1], s4, v68
	v_addc_co_u32_e64 v47, s[0:1], 0, v92, s[0:1]
	global_load_dwordx2 v[93:94], v[46:47], off offset:1408
	s_movk_i32 s0, 0x3000
	v_add_co_u32_e64 v80, s[0:1], s0, v68
	v_addc_co_u32_e64 v81, s[0:1], 0, v92, s[0:1]
	global_load_dwordx2 v[95:96], v[80:81], off offset:384
	global_load_dwordx2 v[97:98], v[80:81], off offset:1792
	;; [unrolled: 1-line block ×4, first 2 shown]
	ds_read2_b64 v[81:84], v66 offset1:176
	v_add_u32_e32 v68, 0x1000, v66
	v_add_u32_e32 v80, 0x400, v66
	s_waitcnt vmcnt(5) lgkmcnt(0)
	v_mul_f32_e32 v46, v82, v39
	v_mul_f32_e32 v47, v81, v39
	v_fma_f32 v46, v81, v38, -v46
	v_fmac_f32_e32 v47, v82, v38
	ds_write_b64 v66, v[46:47]
	ds_read2_b64 v[85:88], v103 offset0:32 offset1:208
	ds_read2_b64 v[89:92], v104 offset0:64 offset1:240
	s_waitcnt vmcnt(4)
	v_mul_f32_e32 v105, v84, v94
	v_mul_f32_e32 v39, v83, v94
	v_fma_f32 v38, v83, v93, -v105
	v_fmac_f32_e32 v39, v84, v93
	s_waitcnt vmcnt(3) lgkmcnt(1)
	v_mul_f32_e32 v46, v88, v96
	v_mul_f32_e32 v47, v87, v96
	s_waitcnt vmcnt(2) lgkmcnt(0)
	v_mul_f32_e32 v81, v90, v98
	v_mul_f32_e32 v82, v89, v98
	s_waitcnt vmcnt(1)
	v_mul_f32_e32 v83, v86, v100
	v_mul_f32_e32 v84, v85, v100
	s_waitcnt vmcnt(0)
	v_mul_f32_e32 v93, v92, v102
	v_mul_f32_e32 v94, v91, v102
	v_fma_f32 v46, v87, v95, -v46
	v_fmac_f32_e32 v47, v88, v95
	v_fma_f32 v81, v89, v97, -v81
	v_fmac_f32_e32 v82, v90, v97
	v_fma_f32 v83, v85, v99, -v83
	v_fmac_f32_e32 v84, v86, v99
	v_fma_f32 v93, v91, v101, -v93
	v_fmac_f32_e32 v94, v92, v101
	ds_write2_b64 v68, v[46:47], v[81:82] offset0:16 offset1:192
	ds_write2_b64 v80, v[38:39], v[83:84] offset0:48 offset1:224
	ds_write_b64 v66, v[93:94] offset:7040
	s_waitcnt lgkmcnt(0)
	s_barrier
	ds_read2_b64 v[81:84], v66 offset1:176
	ds_read2_b64 v[85:88], v103 offset0:32 offset1:208
	ds_read2_b64 v[89:92], v104 offset0:64 offset1:240
	s_waitcnt lgkmcnt(0)
	s_barrier
	v_sub_f32_e32 v93, v81, v87
	v_sub_f32_e32 v94, v82, v88
	;; [unrolled: 1-line block ×6, first 2 shown]
	v_fma_f32 v91, v81, 2.0, -v93
	v_fma_f32 v92, v82, 2.0, -v94
	;; [unrolled: 1-line block ×6, first 2 shown]
	ds_write_b128 v69, v[91:94]
	ds_write_b128 v37, v[87:90]
	;; [unrolled: 1-line block ×3, first 2 shown]
	s_waitcnt lgkmcnt(0)
	s_barrier
	ds_read2_b64 v[36:39], v103 offset0:32 offset1:208
	ds_read2_b64 v[81:84], v104 offset0:64 offset1:240
	ds_read2_b64 v[85:88], v66 offset1:176
	s_waitcnt lgkmcnt(0)
	s_barrier
	v_mul_f32_e32 v46, v41, v39
	v_mul_f32_e32 v47, v41, v38
	;; [unrolled: 1-line block ×6, first 2 shown]
	v_fmac_f32_e32 v46, v40, v38
	v_fma_f32 v39, v40, v39, -v47
	v_fmac_f32_e32 v69, v40, v81
	v_fma_f32 v47, v40, v82, -v89
	;; [unrolled: 2-line block ×3, first 2 shown]
	v_sub_f32_e32 v38, v85, v46
	v_sub_f32_e32 v39, v86, v39
	;; [unrolled: 1-line block ×6, first 2 shown]
	v_fma_f32 v81, v85, 2.0, -v38
	v_fma_f32 v82, v86, 2.0, -v39
	;; [unrolled: 1-line block ×6, first 2 shown]
	ds_write2_b64 v72, v[81:82], v[38:39] offset1:2
	ds_write2_b64 v71, v[83:84], v[40:41] offset1:2
	ds_write2_b64 v70, v[36:37], v[46:47] offset1:2
	s_waitcnt lgkmcnt(0)
	s_barrier
	ds_read2_b64 v[36:39], v103 offset0:32 offset1:208
	ds_read2_b64 v[69:72], v66 offset1:176
	ds_read2_b64 v[81:84], v104 offset0:64 offset1:240
	s_waitcnt lgkmcnt(0)
	s_barrier
	v_mul_f32_e32 v40, v43, v39
	v_fmac_f32_e32 v40, v42, v38
	v_mul_f32_e32 v38, v43, v38
	v_fma_f32 v39, v42, v39, -v38
	v_mul_f32_e32 v46, v43, v82
	v_mul_f32_e32 v38, v43, v81
	v_fmac_f32_e32 v46, v42, v81
	v_fma_f32 v47, v42, v82, -v38
	v_mul_f32_e32 v81, v43, v84
	v_mul_f32_e32 v38, v43, v83
	v_fmac_f32_e32 v81, v42, v83
	v_fma_f32 v82, v42, v84, -v38
	v_sub_f32_e32 v38, v69, v40
	v_sub_f32_e32 v39, v70, v39
	v_fma_f32 v40, v69, 2.0, -v38
	v_fma_f32 v41, v70, 2.0, -v39
	v_sub_f32_e32 v69, v36, v81
	v_sub_f32_e32 v70, v37, v82
	;; [unrolled: 1-line block ×4, first 2 shown]
	v_fma_f32 v36, v36, 2.0, -v69
	v_fma_f32 v37, v37, 2.0, -v70
	;; [unrolled: 1-line block ×4, first 2 shown]
	ds_write2_b64 v75, v[40:41], v[38:39] offset1:4
	ds_write2_b64 v74, v[46:47], v[42:43] offset1:4
	;; [unrolled: 1-line block ×3, first 2 shown]
	s_waitcnt lgkmcnt(0)
	s_barrier
	ds_read2_b64 v[40:43], v103 offset0:32 offset1:208
	ds_read2_b64 v[69:72], v66 offset1:176
	ds_read2_b64 v[36:39], v104 offset0:64 offset1:240
	s_waitcnt lgkmcnt(0)
	s_barrier
	v_mul_f32_e32 v46, v45, v43
	v_fmac_f32_e32 v46, v44, v42
	v_mul_f32_e32 v42, v45, v42
	v_fma_f32 v42, v44, v43, -v42
	v_mul_f32_e32 v43, v45, v37
	v_fmac_f32_e32 v43, v44, v36
	v_mul_f32_e32 v36, v45, v36
	v_fma_f32 v47, v44, v37, -v36
	v_mul_f32_e32 v73, v45, v39
	v_mul_f32_e32 v36, v45, v38
	v_fmac_f32_e32 v73, v44, v38
	v_fma_f32 v74, v44, v39, -v36
	v_sub_f32_e32 v38, v69, v46
	v_sub_f32_e32 v39, v70, v42
	;; [unrolled: 1-line block ×6, first 2 shown]
	v_fma_f32 v36, v69, 2.0, -v38
	v_fma_f32 v37, v70, 2.0, -v39
	;; [unrolled: 1-line block ×6, first 2 shown]
	ds_write2_b64 v78, v[36:37], v[38:39] offset1:8
	ds_write2_b64 v77, v[44:45], v[46:47] offset1:8
	;; [unrolled: 1-line block ×3, first 2 shown]
	s_waitcnt lgkmcnt(0)
	s_barrier
	s_and_saveexec_b64 s[0:1], vcc
	s_cbranch_execz .LBB0_7
; %bb.6:
	v_add_u32_e32 v28, 0x800, v66
	ds_read2_b64 v[36:39], v66 offset1:96
	ds_read2_b64 v[44:47], v80 offset0:64 offset1:160
	ds_read2_b64 v[40:43], v28 offset0:128 offset1:224
	;; [unrolled: 1-line block ×3, first 2 shown]
	v_add_u32_e32 v28, 0x1800, v66
	ds_read2_b64 v[28:31], v28 offset1:96
	ds_read_b64 v[63:64], v66 offset:7680
.LBB0_7:
	s_or_b64 exec, exec, s[0:1]
	s_waitcnt lgkmcnt(0)
	s_barrier
	s_and_saveexec_b64 s[0:1], vcc
	s_cbranch_execz .LBB0_9
; %bb.8:
	v_mul_f32_e32 v68, v19, v63
	v_mul_f32_e32 v69, v13, v38
	v_mul_f32_e32 v13, v13, v39
	v_fma_f32 v68, v18, v64, -v68
	v_fma_f32 v69, v12, v39, -v69
	v_fmac_f32_e32 v13, v12, v38
	v_mul_f32_e32 v12, v19, v64
	v_mul_f32_e32 v19, v17, v30
	;; [unrolled: 1-line block ×3, first 2 shown]
	v_add_f32_e32 v70, v68, v69
	v_fma_f32 v19, v16, v31, -v19
	v_fma_f32 v39, v14, v45, -v39
	v_mul_f32_e32 v15, v15, v45
	v_mul_f32_e32 v71, 0xbf75a155, v70
	v_fmac_f32_e32 v12, v18, v63
	v_add_f32_e32 v63, v19, v39
	v_fmac_f32_e32 v15, v14, v44
	v_mul_f32_e32 v14, v17, v31
	v_sub_f32_e32 v38, v13, v12
	v_mov_b32_e32 v18, v71
	v_mul_f32_e32 v64, 0x3f575c64, v63
	v_fmac_f32_e32 v14, v16, v30
	v_fmac_f32_e32 v18, 0x3e903f40, v38
	v_sub_f32_e32 v30, v15, v14
	v_mov_b32_e32 v16, v64
	v_add_f32_e32 v18, v37, v18
	v_fmac_f32_e32 v16, 0xbf0a6770, v30
	v_add_f32_e32 v16, v16, v18
	v_mul_f32_e32 v17, v7, v28
	v_mul_f32_e32 v18, v9, v46
	v_fma_f32 v17, v6, v29, -v17
	v_fma_f32 v18, v8, v47, -v18
	v_add_f32_e32 v31, v17, v18
	v_mul_f32_e32 v45, v9, v47
	v_mul_f32_e32 v29, v7, v29
	;; [unrolled: 1-line block ×3, first 2 shown]
	v_fmac_f32_e32 v45, v8, v46
	v_fmac_f32_e32 v29, v6, v28
	v_sub_f32_e32 v28, v45, v29
	v_mov_b32_e32 v6, v44
	v_fmac_f32_e32 v6, 0x3f4178ce, v28
	v_mul_f32_e32 v7, v5, v34
	v_add_f32_e32 v6, v6, v16
	v_fma_f32 v16, v4, v35, -v7
	v_mul_f32_e32 v7, v11, v40
	v_fma_f32 v46, v10, v41, -v7
	v_mul_f32_e32 v41, v11, v41
	v_fmac_f32_e32 v41, v10, v40
	v_mul_f32_e32 v10, v5, v35
	v_mul_f32_e32 v5, v3, v32
	v_fma_f32 v11, v2, v33, -v5
	v_mul_f32_e32 v5, v1, v42
	v_add_f32_e32 v8, v16, v46
	v_fma_f32 v35, v0, v43, -v5
	v_mul_f32_e32 v47, 0x3ed4b147, v8
	v_fmac_f32_e32 v10, v4, v34
	v_add_f32_e32 v9, v11, v35
	v_mul_f32_e32 v43, v1, v43
	v_mul_f32_e32 v33, v3, v33
	v_sub_f32_e32 v34, v41, v10
	v_mov_b32_e32 v4, v47
	v_mul_f32_e32 v40, 0xbe11bafb, v9
	v_fmac_f32_e32 v43, v0, v42
	v_fmac_f32_e32 v33, v2, v32
	;; [unrolled: 1-line block ×3, first 2 shown]
	v_sub_f32_e32 v32, v43, v33
	v_mov_b32_e32 v0, v40
	v_sub_f32_e32 v72, v69, v68
	v_add_f32_e32 v4, v4, v6
	v_fmac_f32_e32 v0, 0x3f7d64f0, v32
	v_mul_f32_e32 v73, 0xbe903f40, v72
	v_sub_f32_e32 v75, v39, v19
	v_add_f32_e32 v1, v0, v4
	v_add_f32_e32 v42, v12, v13
	v_mov_b32_e32 v0, v73
	v_mul_f32_e32 v76, 0x3f0a6770, v75
	v_fmac_f32_e32 v0, 0xbf75a155, v42
	v_add_f32_e32 v74, v14, v15
	v_mov_b32_e32 v2, v76
	v_sub_f32_e32 v78, v18, v17
	v_add_f32_e32 v0, v36, v0
	v_fmac_f32_e32 v2, 0x3f575c64, v74
	v_mul_f32_e32 v80, 0xbf4178ce, v78
	v_add_f32_e32 v0, v2, v0
	v_add_f32_e32 v77, v29, v45
	v_mov_b32_e32 v2, v80
	v_sub_f32_e32 v82, v46, v16
	v_fmac_f32_e32 v2, 0xbf27a4f4, v77
	v_mul_f32_e32 v83, 0x3f68dda4, v82
	v_add_f32_e32 v0, v2, v0
	v_add_f32_e32 v81, v10, v41
	v_mov_b32_e32 v2, v83
	v_sub_f32_e32 v85, v35, v11
	v_fmac_f32_e32 v2, 0x3ed4b147, v81
	v_mul_f32_e32 v86, 0xbf7d64f0, v85
	v_add_f32_e32 v0, v2, v0
	v_add_f32_e32 v84, v33, v43
	v_mov_b32_e32 v2, v86
	v_fmac_f32_e32 v2, 0xbe11bafb, v84
	v_mul_f32_e32 v87, 0xbf27a4f4, v70
	v_add_f32_e32 v0, v2, v0
	v_mov_b32_e32 v2, v87
	v_mul_f32_e32 v88, 0xbe11bafb, v63
	v_fmac_f32_e32 v2, 0x3f4178ce, v38
	v_mov_b32_e32 v3, v88
	v_add_f32_e32 v2, v37, v2
	v_fmac_f32_e32 v3, 0xbf7d64f0, v30
	v_mul_f32_e32 v89, 0x3f575c64, v31
	v_add_f32_e32 v2, v3, v2
	v_mov_b32_e32 v3, v89
	v_fmac_f32_e32 v3, 0x3f0a6770, v28
	v_mul_f32_e32 v90, 0xbf75a155, v8
	v_add_f32_e32 v2, v3, v2
	v_mov_b32_e32 v3, v90
	v_fmac_f32_e32 v3, 0x3e903f40, v34
	v_mul_f32_e32 v91, 0x3ed4b147, v9
	v_add_f32_e32 v2, v3, v2
	v_mov_b32_e32 v3, v91
	v_fmac_f32_e32 v3, 0xbf68dda4, v32
	v_mul_f32_e32 v92, 0xbf4178ce, v72
	v_add_f32_e32 v3, v3, v2
	v_mov_b32_e32 v2, v92
	v_mul_f32_e32 v93, 0x3f7d64f0, v75
	v_fmac_f32_e32 v2, 0xbf27a4f4, v42
	v_mov_b32_e32 v4, v93
	v_add_f32_e32 v2, v36, v2
	v_fmac_f32_e32 v4, 0xbe11bafb, v74
	v_mul_f32_e32 v94, 0xbf0a6770, v78
	v_add_f32_e32 v2, v4, v2
	v_mov_b32_e32 v4, v94
	v_fmac_f32_e32 v4, 0x3f575c64, v77
	v_mul_f32_e32 v95, 0xbe903f40, v82
	v_add_f32_e32 v2, v4, v2
	v_mov_b32_e32 v4, v95
	;; [unrolled: 4-line block ×4, first 2 shown]
	v_mul_f32_e32 v98, 0xbf75a155, v63
	v_fmac_f32_e32 v4, 0x3f7d64f0, v38
	v_mov_b32_e32 v5, v98
	v_add_f32_e32 v4, v37, v4
	v_fmac_f32_e32 v5, 0xbe903f40, v30
	v_mul_f32_e32 v99, 0x3ed4b147, v31
	v_add_f32_e32 v4, v5, v4
	v_mov_b32_e32 v5, v99
	v_add_f32_e32 v13, v36, v13
	v_fmac_f32_e32 v5, 0xbf68dda4, v28
	v_mul_f32_e32 v100, 0x3f575c64, v8
	v_add_f32_e32 v13, v15, v13
	v_add_f32_e32 v4, v5, v4
	v_mov_b32_e32 v5, v100
	v_add_f32_e32 v13, v45, v13
	v_fmac_f32_e32 v5, 0x3f0a6770, v34
	v_mul_f32_e32 v101, 0xbf27a4f4, v9
	v_add_f32_e32 v13, v41, v13
	;; [unrolled: 6-line block ×3, first 2 shown]
	v_add_f32_e32 v5, v5, v4
	v_mov_b32_e32 v4, v102
	v_mul_f32_e32 v103, 0x3e903f40, v75
	v_add_f32_e32 v10, v10, v13
	v_fmac_f32_e32 v4, 0xbe11bafb, v42
	v_mov_b32_e32 v6, v103
	v_add_f32_e32 v10, v29, v10
	v_add_f32_e32 v4, v36, v4
	v_fmac_f32_e32 v6, 0xbf75a155, v74
	v_mul_f32_e32 v104, 0x3f68dda4, v78
	v_add_f32_e32 v10, v14, v10
	v_fmac_f32_e32 v71, 0xbe903f40, v38
	v_add_f32_e32 v4, v6, v4
	v_mov_b32_e32 v6, v104
	v_add_f32_e32 v10, v12, v10
	v_add_f32_e32 v12, v37, v71
	v_fmac_f32_e32 v64, 0x3f0a6770, v30
	v_fmac_f32_e32 v6, 0x3ed4b147, v77
	v_mul_f32_e32 v105, 0xbf0a6770, v82
	v_add_f32_e32 v12, v64, v12
	v_fmac_f32_e32 v44, 0xbf4178ce, v28
	v_add_f32_e32 v4, v6, v4
	v_mov_b32_e32 v6, v105
	v_add_f32_e32 v12, v44, v12
	v_fmac_f32_e32 v47, 0x3f68dda4, v34
	s_mov_b32 s4, 0xbf75a155
	v_fmac_f32_e32 v6, 0x3f575c64, v81
	v_mul_f32_e32 v106, 0xbf4178ce, v85
	v_add_f32_e32 v12, v47, v12
	v_fmac_f32_e32 v40, 0xbf7d64f0, v32
	s_mov_b32 s5, 0x3f575c64
	v_add_f32_e32 v4, v6, v4
	v_mov_b32_e32 v6, v106
	v_add_f32_e32 v13, v40, v12
	v_fma_f32 v12, v42, s4, -v73
	s_mov_b32 s6, 0xbf27a4f4
	v_fmac_f32_e32 v6, 0xbf27a4f4, v84
	v_mul_f32_e32 v107, 0x3ed4b147, v70
	v_add_f32_e32 v12, v36, v12
	v_fma_f32 v14, v74, s5, -v76
	s_mov_b32 s7, 0x3ed4b147
	v_add_f32_e32 v4, v6, v4
	v_mov_b32_e32 v6, v107
	v_mul_f32_e32 v108, 0xbf27a4f4, v63
	v_add_f32_e32 v12, v14, v12
	v_fma_f32 v14, v77, s6, -v80
	s_mov_b32 s12, 0xbe11bafb
	v_fmac_f32_e32 v6, 0x3f68dda4, v38
	v_mov_b32_e32 v7, v108
	v_add_f32_e32 v12, v14, v12
	v_fma_f32 v14, v81, s7, -v83
	v_add_f32_e32 v6, v37, v6
	v_fmac_f32_e32 v7, 0x3f4178ce, v30
	v_mul_f32_e32 v109, 0xbf75a155, v31
	v_add_f32_e32 v69, v69, v37
	v_add_f32_e32 v12, v14, v12
	v_fma_f32 v14, v84, s12, -v86
	v_fmac_f32_e32 v87, 0xbf4178ce, v38
	v_add_f32_e32 v6, v7, v6
	v_mov_b32_e32 v7, v109
	v_add_f32_e32 v39, v39, v69
	v_add_f32_e32 v12, v14, v12
	;; [unrolled: 1-line block ×3, first 2 shown]
	v_fmac_f32_e32 v88, 0x3f7d64f0, v30
	v_fmac_f32_e32 v7, 0xbe903f40, v28
	v_mul_f32_e32 v110, 0xbe11bafb, v8
	v_add_f32_e32 v18, v18, v39
	v_add_f32_e32 v14, v88, v14
	v_fmac_f32_e32 v89, 0xbf0a6770, v28
	v_add_f32_e32 v6, v7, v6
	v_mov_b32_e32 v7, v110
	v_add_f32_e32 v18, v46, v18
	v_add_f32_e32 v14, v89, v14
	v_fmac_f32_e32 v90, 0xbe903f40, v34
	v_fmac_f32_e32 v7, 0xbf7d64f0, v34
	v_mul_f32_e32 v111, 0x3f575c64, v9
	v_add_f32_e32 v18, v35, v18
	v_add_f32_e32 v14, v90, v14
	v_fmac_f32_e32 v91, 0x3f68dda4, v32
	v_add_f32_e32 v6, v7, v6
	v_mov_b32_e32 v7, v111
	v_add_f32_e32 v11, v11, v18
	v_add_f32_e32 v15, v91, v14
	v_fma_f32 v14, v42, s6, -v92
	v_fmac_f32_e32 v7, 0xbf0a6770, v32
	v_mul_f32_e32 v112, 0xbf68dda4, v72
	v_add_f32_e32 v11, v16, v11
	v_add_f32_e32 v14, v36, v14
	v_fma_f32 v16, v74, s12, -v93
	v_add_f32_e32 v7, v7, v6
	v_mov_b32_e32 v6, v112
	v_mul_f32_e32 v113, 0xbf4178ce, v75
	v_add_f32_e32 v14, v16, v14
	v_fma_f32 v16, v77, s5, -v94
	v_fmac_f32_e32 v6, 0x3ed4b147, v42
	v_mov_b32_e32 v114, v113
	v_add_f32_e32 v14, v16, v14
	v_fma_f32 v16, v81, s4, -v95
	v_add_f32_e32 v6, v36, v6
	v_fmac_f32_e32 v114, 0xbf27a4f4, v74
	v_add_f32_e32 v14, v16, v14
	v_fma_f32 v16, v84, s7, -v96
	v_fmac_f32_e32 v97, 0xbf7d64f0, v38
	v_add_f32_e32 v6, v114, v6
	v_mul_f32_e32 v114, 0x3e903f40, v78
	v_add_f32_e32 v14, v16, v14
	v_add_f32_e32 v16, v37, v97
	v_fmac_f32_e32 v98, 0x3e903f40, v30
	v_mov_b32_e32 v115, v114
	v_add_f32_e32 v16, v98, v16
	v_fmac_f32_e32 v99, 0x3f68dda4, v28
	v_fmac_f32_e32 v115, 0xbf75a155, v77
	v_add_f32_e32 v16, v99, v16
	v_fmac_f32_e32 v100, 0xbf0a6770, v34
	v_add_f32_e32 v6, v115, v6
	v_mul_f32_e32 v115, 0x3f7d64f0, v82
	v_add_f32_e32 v16, v100, v16
	v_fmac_f32_e32 v101, 0xbf4178ce, v32
	v_mov_b32_e32 v116, v115
	v_add_f32_e32 v11, v17, v11
	v_add_f32_e32 v17, v101, v16
	v_fma_f32 v16, v42, s12, -v102
	v_fmac_f32_e32 v116, 0xbe11bafb, v81
	v_add_f32_e32 v16, v36, v16
	v_fma_f32 v18, v74, s4, -v103
	v_add_f32_e32 v6, v116, v6
	v_mul_f32_e32 v116, 0x3f0a6770, v85
	v_add_f32_e32 v16, v18, v16
	v_fma_f32 v18, v77, s7, -v104
	v_mov_b32_e32 v117, v116
	v_add_f32_e32 v16, v18, v16
	v_fma_f32 v18, v81, s5, -v105
	v_fmac_f32_e32 v117, 0x3f575c64, v84
	v_mul_f32_e32 v70, 0x3f575c64, v70
	v_add_f32_e32 v16, v18, v16
	v_fma_f32 v18, v84, s6, -v106
	v_fmac_f32_e32 v107, 0xbf68dda4, v38
	v_add_f32_e32 v6, v117, v6
	v_mov_b32_e32 v117, v70
	v_mul_f32_e32 v63, 0x3ed4b147, v63
	v_add_f32_e32 v16, v18, v16
	v_add_f32_e32 v18, v37, v107
	v_fmac_f32_e32 v108, 0xbf4178ce, v30
	v_fmac_f32_e32 v117, 0x3f0a6770, v38
	v_mov_b32_e32 v118, v63
	v_add_f32_e32 v18, v108, v18
	v_fmac_f32_e32 v109, 0x3e903f40, v28
	v_add_f32_e32 v117, v37, v117
	v_fmac_f32_e32 v118, 0x3f68dda4, v30
	v_mul_f32_e32 v31, 0xbe11bafb, v31
	v_add_f32_e32 v18, v109, v18
	v_fmac_f32_e32 v110, 0x3f7d64f0, v34
	v_add_f32_e32 v117, v118, v117
	v_mov_b32_e32 v118, v31
	v_add_f32_e32 v18, v110, v18
	v_fmac_f32_e32 v111, 0x3f0a6770, v32
	v_fmac_f32_e32 v118, 0x3f7d64f0, v28
	v_add_f32_e32 v11, v19, v11
	v_add_f32_e32 v19, v111, v18
	v_fma_f32 v18, v42, s7, -v112
	v_add_f32_e32 v117, v118, v117
	v_mul_f32_e32 v118, 0xbf27a4f4, v8
	v_add_f32_e32 v18, v36, v18
	v_fma_f32 v29, v74, s6, -v113
	v_mov_b32_e32 v8, v118
	v_add_f32_e32 v18, v29, v18
	v_fma_f32 v29, v77, s4, -v114
	v_fmac_f32_e32 v8, 0x3f4178ce, v34
	v_add_f32_e32 v18, v29, v18
	v_fma_f32 v29, v81, s12, -v115
	v_add_f32_e32 v8, v8, v117
	v_mul_f32_e32 v117, 0xbf75a155, v9
	v_add_f32_e32 v18, v29, v18
	v_fma_f32 v29, v84, s5, -v116
	v_fmac_f32_e32 v70, 0xbf0a6770, v38
	v_mov_b32_e32 v9, v117
	v_add_f32_e32 v18, v29, v18
	v_add_f32_e32 v29, v37, v70
	v_fmac_f32_e32 v63, 0xbf68dda4, v30
	v_fmac_f32_e32 v9, 0x3e903f40, v32
	v_mul_f32_e32 v72, 0xbf0a6770, v72
	v_add_f32_e32 v29, v63, v29
	v_fmac_f32_e32 v31, 0xbf7d64f0, v28
	v_add_f32_e32 v9, v9, v8
	v_mov_b32_e32 v8, v72
	v_mul_f32_e32 v75, 0xbf68dda4, v75
	v_add_f32_e32 v28, v31, v29
	v_fmac_f32_e32 v118, 0xbf4178ce, v34
	v_fmac_f32_e32 v8, 0x3f575c64, v42
	v_mov_b32_e32 v119, v75
	v_add_f32_e32 v28, v118, v28
	v_fmac_f32_e32 v117, 0xbe903f40, v32
	v_add_f32_e32 v8, v36, v8
	v_fmac_f32_e32 v119, 0x3ed4b147, v74
	v_mul_f32_e32 v78, 0xbf7d64f0, v78
	v_add_f32_e32 v29, v117, v28
	v_fma_f32 v28, v42, s5, -v72
	v_add_f32_e32 v8, v119, v8
	v_mov_b32_e32 v119, v78
	v_add_f32_e32 v28, v36, v28
	v_fma_f32 v30, v74, s7, -v75
	v_fmac_f32_e32 v119, 0xbe11bafb, v77
	v_mul_f32_e32 v82, 0xbf4178ce, v82
	v_add_f32_e32 v28, v30, v28
	v_fma_f32 v30, v77, s12, -v78
	v_add_f32_e32 v8, v119, v8
	v_mov_b32_e32 v119, v82
	v_mul_f32_e32 v85, 0xbe903f40, v85
	v_add_f32_e32 v28, v30, v28
	v_fma_f32 v30, v81, s6, -v82
	v_fmac_f32_e32 v119, 0xbf27a4f4, v81
	v_add_f32_e32 v28, v30, v28
	v_fma_f32 v30, v84, s4, -v85
	v_add_f32_e32 v8, v119, v8
	v_mov_b32_e32 v119, v85
	v_add_f32_e32 v28, v30, v28
	v_mul_u32_u24_e32 v30, 0xb0, v79
	v_fmac_f32_e32 v119, 0xbf75a155, v84
	v_or_b32_e32 v30, v30, v67
	v_add_f32_e32 v8, v119, v8
	v_add_f32_e32 v11, v68, v11
	v_lshlrev_b32_e32 v30, 3, v30
	ds_write2_b64 v30, v[10:11], v[8:9] offset1:16
	ds_write2_b64 v30, v[6:7], v[4:5] offset0:32 offset1:48
	ds_write2_b64 v30, v[2:3], v[0:1] offset0:64 offset1:80
	;; [unrolled: 1-line block ×4, first 2 shown]
	ds_write_b64 v30, v[28:29] offset:1280
.LBB0_9:
	s_or_b64 exec, exec, s[0:1]
	s_waitcnt lgkmcnt(0)
	s_barrier
	ds_read2_b64 v[0:3], v66 offset1:176
	v_add_u32_e32 v14, 0xa00, v66
	ds_read2_b64 v[4:7], v14 offset0:32 offset1:208
	v_add_u32_e32 v15, 0x1400, v66
	ds_read2_b64 v[8:11], v15 offset0:64 offset1:240
	s_waitcnt lgkmcnt(2)
	v_mul_f32_e32 v16, v25, v3
	v_fmac_f32_e32 v16, v24, v2
	v_mul_f32_e32 v2, v25, v2
	v_fma_f32 v17, v24, v3, -v2
	s_waitcnt lgkmcnt(1)
	v_mul_f32_e32 v2, v27, v5
	v_mul_f32_e32 v3, v27, v4
	v_fmac_f32_e32 v2, v26, v4
	v_fma_f32 v3, v26, v5, -v3
	v_mul_f32_e32 v4, v21, v7
	v_mul_f32_e32 v5, v21, v6
	v_fmac_f32_e32 v4, v20, v6
	v_fma_f32 v5, v20, v7, -v5
	s_waitcnt lgkmcnt(0)
	v_mul_f32_e32 v6, v23, v9
	v_mul_f32_e32 v7, v23, v8
	v_fmac_f32_e32 v6, v22, v8
	v_fma_f32 v7, v22, v9, -v7
	v_mul_f32_e32 v9, v62, v10
	v_mul_f32_e32 v8, v62, v11
	v_fma_f32 v9, v61, v11, -v9
	v_add_f32_e32 v11, v2, v6
	v_fma_f32 v11, -0.5, v11, v0
	v_fmac_f32_e32 v8, v61, v10
	v_add_f32_e32 v10, v0, v2
	v_sub_f32_e32 v0, v3, v7
	v_mov_b32_e32 v18, v11
	v_fmac_f32_e32 v18, 0xbf5db3d7, v0
	v_fmac_f32_e32 v11, 0x3f5db3d7, v0
	v_add_f32_e32 v0, v1, v3
	v_add_f32_e32 v19, v0, v7
	v_add_f32_e32 v0, v3, v7
	v_fma_f32 v20, -0.5, v0, v1
	v_sub_f32_e32 v0, v2, v6
	v_mov_b32_e32 v21, v20
	v_fmac_f32_e32 v21, 0x3f5db3d7, v0
	v_fmac_f32_e32 v20, 0xbf5db3d7, v0
	v_add_f32_e32 v0, v16, v4
	v_add_f32_e32 v10, v10, v6
	;; [unrolled: 1-line block ×4, first 2 shown]
	v_fmac_f32_e32 v16, -0.5, v0
	v_sub_f32_e32 v0, v5, v9
	v_mov_b32_e32 v3, v16
	v_fmac_f32_e32 v3, 0xbf5db3d7, v0
	v_fmac_f32_e32 v16, 0x3f5db3d7, v0
	v_add_f32_e32 v0, v17, v5
	v_add_f32_e32 v7, v0, v9
	;; [unrolled: 1-line block ×3, first 2 shown]
	v_fmac_f32_e32 v17, -0.5, v0
	v_sub_f32_e32 v0, v4, v8
	v_mov_b32_e32 v5, v17
	v_fmac_f32_e32 v5, 0x3f5db3d7, v0
	v_fmac_f32_e32 v17, 0xbf5db3d7, v0
	v_mul_f32_e32 v8, 0xbf5db3d7, v5
	v_mul_f32_e32 v22, 0.5, v5
	v_fmac_f32_e32 v8, 0.5, v3
	v_mul_f32_e32 v9, 0xbf5db3d7, v17
	v_fmac_f32_e32 v22, 0x3f5db3d7, v3
	v_mul_f32_e32 v17, -0.5, v17
	v_mad_u64_u32 v[12:13], s[0:1], s10, v50, 0
	v_add_f32_e32 v0, v10, v6
	v_add_f32_e32 v2, v18, v8
	v_fmac_f32_e32 v9, -0.5, v16
	v_add_f32_e32 v1, v19, v7
	v_add_f32_e32 v3, v21, v22
	v_fmac_f32_e32 v17, 0x3f5db3d7, v16
	v_add_f32_e32 v4, v11, v9
	v_add_f32_e32 v5, v20, v17
	v_sub_f32_e32 v6, v10, v6
	v_sub_f32_e32 v8, v18, v8
	;; [unrolled: 1-line block ×6, first 2 shown]
	ds_write2_b64 v66, v[0:1], v[2:3] offset1:176
	ds_write2_b64 v14, v[4:5], v[6:7] offset0:32 offset1:208
	ds_write2_b64 v15, v[8:9], v[10:11] offset0:64 offset1:240
	s_waitcnt lgkmcnt(0)
	s_barrier
	ds_read2_b64 v[0:3], v66 offset1:176
	v_mov_b32_e32 v4, v13
	v_mad_u64_u32 v[4:5], s[0:1], s11, v50, v[4:5]
	s_mov_b32 s0, 0xf07c1f08
	s_waitcnt lgkmcnt(0)
	v_mul_f32_e32 v5, v60, v1
	v_fmac_f32_e32 v5, v59, v0
	v_cvt_f64_f32_e32 v[5:6], v5
	s_mov_b32 s1, 0x3f4f07c1
	v_mul_f32_e32 v0, v60, v0
	v_fma_f32 v0, v59, v1, -v0
	v_mul_f64 v[5:6], v[5:6], s[0:1]
	v_cvt_f64_f32_e32 v[0:1], v0
	v_mad_u64_u32 v[8:9], s[4:5], s8, v65, 0
	v_mov_b32_e32 v13, v4
	v_mul_f64 v[0:1], v[0:1], s[0:1]
	v_mov_b32_e32 v4, v9
	v_mad_u64_u32 v[9:10], s[4:5], s9, v65, v[4:5]
	v_cvt_f32_f64_e32 v10, v[5:6]
	ds_read2_b64 v[4:7], v14 offset0:32 offset1:208
	v_mov_b32_e32 v14, s3
	v_cvt_f32_f64_e32 v11, v[0:1]
	v_lshlrev_b64 v[0:1], 3, v[12:13]
	v_lshlrev_b64 v[8:9], 3, v[8:9]
	s_waitcnt lgkmcnt(0)
	v_mul_f32_e32 v12, v58, v7
	v_fmac_f32_e32 v12, v57, v6
	v_cvt_f64_f32_e32 v[12:13], v12
	v_add_co_u32_e32 v16, vcc, s2, v0
	v_addc_co_u32_e32 v14, vcc, v14, v1, vcc
	v_mul_f64 v[0:1], v[12:13], s[0:1]
	v_mul_f32_e32 v6, v58, v6
	v_fma_f32 v6, v57, v7, -v6
	v_cvt_f64_f32_e32 v[6:7], v6
	v_add_co_u32_e32 v8, vcc, v16, v8
	v_addc_co_u32_e32 v9, vcc, v14, v9, vcc
	v_mul_f64 v[6:7], v[6:7], s[0:1]
	global_store_dwordx2 v[8:9], v[10:11], off
	v_cvt_f32_f64_e32 v10, v[0:1]
	v_mul_f32_e32 v0, v56, v3
	v_fmac_f32_e32 v0, v55, v2
	v_mul_f32_e32 v2, v56, v2
	v_fma_f32 v2, v55, v3, -v2
	v_cvt_f64_f32_e32 v[0:1], v0
	v_cvt_f64_f32_e32 v[2:3], v2
	v_cvt_f32_f64_e32 v11, v[6:7]
	s_mul_i32 s2, s9, 0x1080
	v_mul_f64 v[6:7], v[0:1], s[0:1]
	v_mul_f64 v[12:13], v[2:3], s[0:1]
	ds_read2_b64 v[0:3], v15 offset0:64 offset1:240
	s_mul_hi_u32 s3, s8, 0x1080
	s_add_i32 s4, s3, s2
	s_mul_i32 s5, s8, 0x1080
	v_mov_b32_e32 v14, s4
	v_add_co_u32_e32 v8, vcc, s5, v8
	v_addc_co_u32_e32 v9, vcc, v9, v14, vcc
	global_store_dwordx2 v[8:9], v[10:11], off
	s_waitcnt lgkmcnt(0)
	v_mul_f32_e32 v10, v54, v1
	v_fmac_f32_e32 v10, v53, v0
	v_cvt_f64_f32_e32 v[10:11], v10
	v_mul_f32_e32 v0, v54, v0
	v_fma_f32 v0, v53, v1, -v0
	v_cvt_f64_f32_e32 v[0:1], v0
	v_mul_f64 v[10:11], v[10:11], s[0:1]
	v_cvt_f32_f64_e32 v6, v[6:7]
	v_cvt_f32_f64_e32 v7, v[12:13]
	v_mul_f64 v[0:1], v[0:1], s[0:1]
	v_mov_b32_e32 v16, 0xfffff500
	v_mad_u64_u32 v[8:9], s[2:3], s8, v16, v[8:9]
	s_mul_i32 s2, s9, 0xfffff500
	v_cvt_f32_f64_e32 v10, v[10:11]
	v_mul_f32_e32 v11, v52, v5
	v_fmac_f32_e32 v11, v51, v4
	v_cvt_f64_f32_e32 v[12:13], v11
	v_mul_f32_e32 v4, v52, v4
	v_fma_f32 v4, v51, v5, -v4
	v_cvt_f64_f32_e32 v[4:5], v4
	v_cvt_f32_f64_e32 v11, v[0:1]
	v_mul_f64 v[0:1], v[12:13], s[0:1]
	v_mul_f32_e32 v12, v49, v3
	v_fmac_f32_e32 v12, v48, v2
	v_mul_f32_e32 v2, v49, v2
	v_fma_f32 v2, v48, v3, -v2
	v_mul_f64 v[4:5], v[4:5], s[0:1]
	v_cvt_f64_f32_e32 v[12:13], v12
	v_cvt_f64_f32_e32 v[2:3], v2
	s_sub_i32 s2, s2, s8
	v_add_u32_e32 v9, s2, v9
	v_mul_f64 v[12:13], v[12:13], s[0:1]
	v_mul_f64 v[2:3], v[2:3], s[0:1]
	v_mov_b32_e32 v15, s4
	v_add_co_u32_e32 v14, vcc, s5, v8
	v_addc_co_u32_e32 v15, vcc, v9, v15, vcc
	v_mad_u64_u32 v[16:17], s[0:1], s8, v16, v[14:15]
	v_cvt_f32_f64_e32 v0, v[0:1]
	v_cvt_f32_f64_e32 v1, v[4:5]
	v_add_u32_e32 v17, s2, v17
	global_store_dwordx2 v[8:9], v[6:7], off
	global_store_dwordx2 v[14:15], v[10:11], off
	global_store_dwordx2 v[16:17], v[0:1], off
	v_cvt_f32_f64_e32 v0, v[12:13]
	v_cvt_f32_f64_e32 v1, v[2:3]
	v_mov_b32_e32 v3, s4
	v_add_co_u32_e32 v2, vcc, s5, v16
	v_addc_co_u32_e32 v3, vcc, v17, v3, vcc
	global_store_dwordx2 v[2:3], v[0:1], off
.LBB0_10:
	s_endpgm
	.section	.rodata,"a",@progbits
	.p2align	6, 0x0
	.amdhsa_kernel bluestein_single_back_len1056_dim1_sp_op_CI_CI
		.amdhsa_group_segment_fixed_size 8448
		.amdhsa_private_segment_fixed_size 0
		.amdhsa_kernarg_size 104
		.amdhsa_user_sgpr_count 6
		.amdhsa_user_sgpr_private_segment_buffer 1
		.amdhsa_user_sgpr_dispatch_ptr 0
		.amdhsa_user_sgpr_queue_ptr 0
		.amdhsa_user_sgpr_kernarg_segment_ptr 1
		.amdhsa_user_sgpr_dispatch_id 0
		.amdhsa_user_sgpr_flat_scratch_init 0
		.amdhsa_user_sgpr_private_segment_size 0
		.amdhsa_uses_dynamic_stack 0
		.amdhsa_system_sgpr_private_segment_wavefront_offset 0
		.amdhsa_system_sgpr_workgroup_id_x 1
		.amdhsa_system_sgpr_workgroup_id_y 0
		.amdhsa_system_sgpr_workgroup_id_z 0
		.amdhsa_system_sgpr_workgroup_info 0
		.amdhsa_system_vgpr_workitem_id 0
		.amdhsa_next_free_vgpr 188
		.amdhsa_next_free_sgpr 20
		.amdhsa_reserve_vcc 1
		.amdhsa_reserve_flat_scratch 0
		.amdhsa_float_round_mode_32 0
		.amdhsa_float_round_mode_16_64 0
		.amdhsa_float_denorm_mode_32 3
		.amdhsa_float_denorm_mode_16_64 3
		.amdhsa_dx10_clamp 1
		.amdhsa_ieee_mode 1
		.amdhsa_fp16_overflow 0
		.amdhsa_exception_fp_ieee_invalid_op 0
		.amdhsa_exception_fp_denorm_src 0
		.amdhsa_exception_fp_ieee_div_zero 0
		.amdhsa_exception_fp_ieee_overflow 0
		.amdhsa_exception_fp_ieee_underflow 0
		.amdhsa_exception_fp_ieee_inexact 0
		.amdhsa_exception_int_div_zero 0
	.end_amdhsa_kernel
	.text
.Lfunc_end0:
	.size	bluestein_single_back_len1056_dim1_sp_op_CI_CI, .Lfunc_end0-bluestein_single_back_len1056_dim1_sp_op_CI_CI
                                        ; -- End function
	.section	.AMDGPU.csdata,"",@progbits
; Kernel info:
; codeLenInByte = 9104
; NumSgprs: 24
; NumVgprs: 188
; ScratchSize: 0
; MemoryBound: 0
; FloatMode: 240
; IeeeMode: 1
; LDSByteSize: 8448 bytes/workgroup (compile time only)
; SGPRBlocks: 2
; VGPRBlocks: 46
; NumSGPRsForWavesPerEU: 24
; NumVGPRsForWavesPerEU: 188
; Occupancy: 1
; WaveLimiterHint : 1
; COMPUTE_PGM_RSRC2:SCRATCH_EN: 0
; COMPUTE_PGM_RSRC2:USER_SGPR: 6
; COMPUTE_PGM_RSRC2:TRAP_HANDLER: 0
; COMPUTE_PGM_RSRC2:TGID_X_EN: 1
; COMPUTE_PGM_RSRC2:TGID_Y_EN: 0
; COMPUTE_PGM_RSRC2:TGID_Z_EN: 0
; COMPUTE_PGM_RSRC2:TIDIG_COMP_CNT: 0
	.type	__hip_cuid_58cffb9ad5f7fd09,@object ; @__hip_cuid_58cffb9ad5f7fd09
	.section	.bss,"aw",@nobits
	.globl	__hip_cuid_58cffb9ad5f7fd09
__hip_cuid_58cffb9ad5f7fd09:
	.byte	0                               ; 0x0
	.size	__hip_cuid_58cffb9ad5f7fd09, 1

	.ident	"AMD clang version 19.0.0git (https://github.com/RadeonOpenCompute/llvm-project roc-6.4.0 25133 c7fe45cf4b819c5991fe208aaa96edf142730f1d)"
	.section	".note.GNU-stack","",@progbits
	.addrsig
	.addrsig_sym __hip_cuid_58cffb9ad5f7fd09
	.amdgpu_metadata
---
amdhsa.kernels:
  - .args:
      - .actual_access:  read_only
        .address_space:  global
        .offset:         0
        .size:           8
        .value_kind:     global_buffer
      - .actual_access:  read_only
        .address_space:  global
        .offset:         8
        .size:           8
        .value_kind:     global_buffer
      - .actual_access:  read_only
        .address_space:  global
        .offset:         16
        .size:           8
        .value_kind:     global_buffer
      - .actual_access:  read_only
        .address_space:  global
        .offset:         24
        .size:           8
        .value_kind:     global_buffer
      - .actual_access:  read_only
        .address_space:  global
        .offset:         32
        .size:           8
        .value_kind:     global_buffer
      - .offset:         40
        .size:           8
        .value_kind:     by_value
      - .address_space:  global
        .offset:         48
        .size:           8
        .value_kind:     global_buffer
      - .address_space:  global
        .offset:         56
        .size:           8
        .value_kind:     global_buffer
      - .address_space:  global
        .offset:         64
        .size:           8
        .value_kind:     global_buffer
      - .address_space:  global
        .offset:         72
        .size:           8
        .value_kind:     global_buffer
      - .offset:         80
        .size:           4
        .value_kind:     by_value
      - .address_space:  global
        .offset:         88
        .size:           8
        .value_kind:     global_buffer
      - .address_space:  global
        .offset:         96
        .size:           8
        .value_kind:     global_buffer
    .group_segment_fixed_size: 8448
    .kernarg_segment_align: 8
    .kernarg_segment_size: 104
    .language:       OpenCL C
    .language_version:
      - 2
      - 0
    .max_flat_workgroup_size: 176
    .name:           bluestein_single_back_len1056_dim1_sp_op_CI_CI
    .private_segment_fixed_size: 0
    .sgpr_count:     24
    .sgpr_spill_count: 0
    .symbol:         bluestein_single_back_len1056_dim1_sp_op_CI_CI.kd
    .uniform_work_group_size: 1
    .uses_dynamic_stack: false
    .vgpr_count:     188
    .vgpr_spill_count: 0
    .wavefront_size: 64
amdhsa.target:   amdgcn-amd-amdhsa--gfx906
amdhsa.version:
  - 1
  - 2
...

	.end_amdgpu_metadata
